;; amdgpu-corpus repo=ROCm/rocFFT kind=compiled arch=gfx1201 opt=O3
	.text
	.amdgcn_target "amdgcn-amd-amdhsa--gfx1201"
	.amdhsa_code_object_version 6
	.protected	bluestein_single_back_len24_dim1_sp_op_CI_CI ; -- Begin function bluestein_single_back_len24_dim1_sp_op_CI_CI
	.globl	bluestein_single_back_len24_dim1_sp_op_CI_CI
	.p2align	8
	.type	bluestein_single_back_len24_dim1_sp_op_CI_CI,@function
bluestein_single_back_len24_dim1_sp_op_CI_CI: ; @bluestein_single_back_len24_dim1_sp_op_CI_CI
; %bb.0:
	s_load_b128 s[8:11], s[0:1], 0x28
	v_lshrrev_b32_e32 v1, 3, v0
	v_mov_b32_e32 v21, 0
	s_mov_b32 s2, exec_lo
	s_delay_alu instid0(VALU_DEP_2) | instskip(SKIP_1) | instid1(VALU_DEP_1)
	v_lshl_or_b32 v20, ttmp9, 5, v1
	s_wait_kmcnt 0x0
	v_cmpx_gt_u64_e64 s[8:9], v[20:21]
	s_cbranch_execz .LBB0_15
; %bb.1:
	s_clause 0x1
	s_load_b64 s[12:13], s[0:1], 0x0
	s_load_b64 s[8:9], s[0:1], 0x38
	v_and_b32_e32 v22, 7, v0
	v_mul_u32_u24_e32 v24, 24, v1
	s_delay_alu instid0(VALU_DEP_2) | instskip(SKIP_1) | instid1(VALU_DEP_3)
	v_cmp_gt_u32_e32 vcc_lo, 3, v22
	v_lshlrev_b32_e32 v23, 3, v22
	v_or_b32_e32 v16, v24, v22
	v_add_lshl_u32 v0, v24, v22, 3
	v_or_b32_e32 v21, 12, v22
	s_and_saveexec_b32 s3, vcc_lo
	s_cbranch_execz .LBB0_3
; %bb.2:
	s_load_b64 s[4:5], s[0:1], 0x18
	s_wait_kmcnt 0x0
	global_load_b64 v[13:14], v23, s[12:13]
	v_lshlrev_b32_e32 v19, 3, v16
	s_load_b128 s[4:7], s[4:5], 0x0
	s_wait_kmcnt 0x0
	v_mad_co_u64_u32 v[1:2], null, s6, v20, 0
	v_mad_co_u64_u32 v[3:4], null, s4, v22, 0
	s_delay_alu instid0(VALU_DEP_1) | instskip(SKIP_1) | instid1(VALU_DEP_1)
	v_mad_co_u64_u32 v[5:6], null, s7, v20, v[2:3]
	s_mul_u64 s[6:7], s[4:5], 24
	v_mad_co_u64_u32 v[6:7], null, s5, v22, v[4:5]
	v_mov_b32_e32 v2, v5
	s_delay_alu instid0(VALU_DEP_1) | instskip(NEXT) | instid1(VALU_DEP_3)
	v_lshlrev_b64_e32 v[1:2], 3, v[1:2]
	v_mov_b32_e32 v4, v6
	v_mad_co_u64_u32 v[5:6], null, s4, v21, 0
	s_delay_alu instid0(VALU_DEP_2) | instskip(NEXT) | instid1(VALU_DEP_4)
	v_lshlrev_b64_e32 v[3:4], 3, v[3:4]
	v_add_co_u32 v15, s2, s10, v1
	s_delay_alu instid0(VALU_DEP_1) | instskip(NEXT) | instid1(VALU_DEP_2)
	v_add_co_ci_u32_e64 v17, s2, s11, v2, s2
	v_add_co_u32 v1, s2, v15, v3
	v_mov_b32_e32 v3, v6
	s_wait_alu 0xf1ff
	s_delay_alu instid0(VALU_DEP_3)
	v_add_co_ci_u32_e64 v2, s2, v17, v4, s2
	s_wait_alu 0xfffe
	v_add_co_u32 v7, s2, v1, s6
	v_mad_co_u64_u32 v[3:4], null, s5, v21, v[3:4]
	s_wait_alu 0xf1ff
	v_add_co_ci_u32_e64 v8, s2, s7, v2, s2
	s_delay_alu instid0(VALU_DEP_3) | instskip(SKIP_1) | instid1(VALU_DEP_2)
	v_add_co_u32 v9, s2, v7, s6
	s_wait_alu 0xf1ff
	v_add_co_ci_u32_e64 v10, s2, s7, v8, s2
	s_delay_alu instid0(VALU_DEP_4) | instskip(NEXT) | instid1(VALU_DEP_3)
	v_mov_b32_e32 v6, v3
	v_add_co_u32 v11, s2, v9, s6
	s_wait_alu 0xf1ff
	s_delay_alu instid0(VALU_DEP_3) | instskip(NEXT) | instid1(VALU_DEP_3)
	v_add_co_ci_u32_e64 v12, s2, s7, v10, s2
	v_lshlrev_b64_e32 v[5:6], 3, v[5:6]
	s_delay_alu instid0(VALU_DEP_2) | instskip(NEXT) | instid1(VALU_DEP_2)
	v_mad_co_u64_u32 v[3:4], null, s4, 48, v[11:12]
	v_add_co_u32 v5, s2, v15, v5
	s_wait_alu 0xf1ff
	s_delay_alu instid0(VALU_DEP_3)
	v_add_co_ci_u32_e64 v6, s2, v17, v6, s2
	global_load_b64 v[17:18], v23, s[12:13] offset:96
	global_load_b64 v[1:2], v[1:2], off
	v_mad_co_u64_u32 v[25:26], null, s5, 48, v[4:5]
	s_clause 0x1
	global_load_b64 v[5:6], v[5:6], off
	global_load_b64 v[7:8], v[7:8], off
	s_clause 0x3
	global_load_b64 v[26:27], v23, s[12:13] offset:24
	global_load_b64 v[28:29], v23, s[12:13] offset:48
	;; [unrolled: 1-line block ×4, first 2 shown]
	s_clause 0x1
	global_load_b64 v[9:10], v[9:10], off
	global_load_b64 v[11:12], v[11:12], off
	v_add_co_u32 v34, s2, v3, s6
	v_mov_b32_e32 v4, v25
	v_lshl_add_u32 v25, v24, 3, v23
	s_wait_loadcnt 0x8
	v_mul_f32_e32 v42, v2, v14
	v_mul_f32_e32 v15, v1, v14
	s_wait_loadcnt 0x7
	v_mul_f32_e32 v14, v6, v18
	v_mul_f32_e32 v18, v5, v18
	s_wait_loadcnt 0x5
	v_dual_fmac_f32 v42, v1, v13 :: v_dual_mul_f32 v1, v8, v27
	s_wait_alu 0xf1ff
	v_add_co_ci_u32_e64 v35, s2, s7, v4, s2
	global_load_b64 v[3:4], v[3:4], off
	v_add_co_u32 v36, s2, v34, s6
	v_fmac_f32_e32 v1, v7, v26
	s_wait_alu 0xf1ff
	v_add_co_ci_u32_e64 v37, s2, s7, v35, s2
	global_load_b64 v[34:35], v[34:35], off
	s_clause 0x1
	global_load_b64 v[38:39], v23, s[12:13] offset:144
	global_load_b64 v[40:41], v23, s[12:13] offset:168
	global_load_b64 v[36:37], v[36:37], off
	v_fma_f32 v43, v2, v13, -v15
	v_mul_f32_e32 v2, v7, v27
	s_wait_loadcnt 0x5
	v_dual_mul_f32 v7, v12, v31 :: v_dual_fmac_f32 v14, v5, v17
	v_mul_f32_e32 v5, v10, v29
	v_fma_f32 v15, v6, v17, -v18
	s_delay_alu instid0(VALU_DEP_3) | instskip(NEXT) | instid1(VALU_DEP_3)
	v_dual_mul_f32 v6, v9, v29 :: v_dual_fmac_f32 v7, v11, v30
	v_fmac_f32_e32 v5, v9, v28
	s_wait_loadcnt 0x4
	v_mul_f32_e32 v9, v4, v33
	v_fma_f32 v2, v8, v26, -v2
	v_mul_f32_e32 v8, v11, v31
	s_delay_alu instid0(VALU_DEP_3)
	v_fmac_f32_e32 v9, v3, v32
	s_wait_loadcnt 0x0
	v_mul_f32_e32 v11, v37, v41
	v_fma_f32 v6, v10, v28, -v6
	v_mul_f32_e32 v10, v3, v33
	v_mul_f32_e32 v3, v35, v39
	v_fma_f32 v8, v12, v30, -v8
	v_dual_mul_f32 v12, v34, v39 :: v_dual_mul_f32 v13, v36, v41
	v_fmac_f32_e32 v11, v36, v40
	s_delay_alu instid0(VALU_DEP_4) | instskip(SKIP_1) | instid1(VALU_DEP_4)
	v_fmac_f32_e32 v3, v34, v38
	v_fma_f32 v10, v4, v32, -v10
	v_fma_f32 v4, v35, v38, -v12
	;; [unrolled: 1-line block ×3, first 2 shown]
	ds_store_b64 v19, v[42:43]
	ds_store_b64 v0, v[1:2] offset:24
	ds_store_2addr_b64 v25, v[5:6], v[7:8] offset0:6 offset1:9
	ds_store_2addr_b64 v25, v[14:15], v[9:10] offset0:12 offset1:15
	;; [unrolled: 1-line block ×3, first 2 shown]
.LBB0_3:
	s_or_b32 exec_lo, exec_lo, s3
	s_clause 0x1
	s_load_b64 s[2:3], s[0:1], 0x20
	s_load_b64 s[4:5], s[0:1], 0x8
	v_lshlrev_b32_e32 v17, 3, v24
	global_wb scope:SCOPE_SE
	s_wait_dscnt 0x0
	s_wait_kmcnt 0x0
	s_barrier_signal -1
	s_barrier_wait -1
	global_inv scope:SCOPE_SE
                                        ; implicit-def: $vgpr5
                                        ; implicit-def: $vgpr9
                                        ; implicit-def: $vgpr2
                                        ; implicit-def: $vgpr12
                                        ; implicit-def: $vgpr14
	s_and_saveexec_b32 s0, vcc_lo
	s_cbranch_execz .LBB0_5
; %bb.4:
	v_lshlrev_b32_e32 v1, 3, v16
	v_lshl_add_u32 v8, v22, 3, v17
	ds_load_b64 v[14:15], v1
	ds_load_b64 v[12:13], v0 offset:24
	ds_load_2addr_b64 v[0:3], v8 offset0:6 offset1:9
	ds_load_2addr_b64 v[4:7], v8 offset0:12 offset1:15
	;; [unrolled: 1-line block ×3, first 2 shown]
.LBB0_5:
	s_wait_alu 0xfffe
	s_or_b32 exec_lo, exec_lo, s0
	s_wait_dscnt 0x1
	v_dual_sub_f32 v4, v14, v4 :: v_dual_sub_f32 v5, v15, v5
	s_wait_dscnt 0x0
	v_dual_sub_f32 v18, v0, v8 :: v_dual_sub_f32 v9, v1, v9
	v_dual_sub_f32 v6, v12, v6 :: v_dual_sub_f32 v7, v13, v7
	;; [unrolled: 1-line block ×3, first 2 shown]
	v_fma_f32 v14, v14, 2.0, -v4
	v_fma_f32 v15, v15, 2.0, -v5
	;; [unrolled: 1-line block ×8, first 2 shown]
	v_dual_sub_f32 v0, v14, v0 :: v_dual_sub_f32 v9, v4, v9
	s_delay_alu instid0(VALU_DEP_3) | instskip(SKIP_1) | instid1(VALU_DEP_4)
	v_dual_sub_f32 v8, v15, v1 :: v_dual_sub_f32 v19, v12, v19
	v_add_f32_e32 v26, v18, v5
	v_dual_sub_f32 v25, v13, v25 :: v_dual_add_f32 v10, v10, v7
	s_delay_alu instid0(VALU_DEP_4)
	v_fma_f32 v1, v14, 2.0, -v0
	v_fma_f32 v3, v4, 2.0, -v9
	;; [unrolled: 1-line block ×3, first 2 shown]
	v_sub_f32_e32 v11, v6, v11
	v_fma_f32 v18, v5, 2.0, -v26
	v_fma_f32 v5, v13, 2.0, -v25
	;; [unrolled: 1-line block ×3, first 2 shown]
	v_sub_f32_e32 v4, v1, v4
	v_fma_f32 v2, v15, 2.0, -v8
	v_fma_f32 v12, v6, 2.0, -v11
	global_wb scope:SCOPE_SE
	v_fmamk_f32 v7, v13, 0xbf3504f3, v18
	v_dual_fmamk_f32 v14, v11, 0x3f3504f3, v9 :: v_dual_fmamk_f32 v15, v10, 0x3f3504f3, v26
	v_dual_fmamk_f32 v6, v12, 0xbf3504f3, v3 :: v_dual_sub_f32 v5, v2, v5
	s_delay_alu instid0(VALU_DEP_3) | instskip(NEXT) | instid1(VALU_DEP_3)
	v_fmac_f32_e32 v7, 0x3f3504f3, v12
	v_fmac_f32_e32 v14, 0xbf3504f3, v10
	s_delay_alu instid0(VALU_DEP_4) | instskip(NEXT) | instid1(VALU_DEP_4)
	v_dual_fmac_f32 v15, 0x3f3504f3, v11 :: v_dual_sub_f32 v12, v0, v25
	v_dual_fmac_f32 v6, 0xbf3504f3, v13 :: v_dual_add_f32 v13, v19, v8
	s_delay_alu instid0(VALU_DEP_3) | instskip(NEXT) | instid1(VALU_DEP_3)
	v_fma_f32 v10, v9, 2.0, -v14
	v_fma_f32 v11, v26, 2.0, -v15
	s_barrier_signal -1
	s_barrier_wait -1
	global_inv scope:SCOPE_SE
	s_and_saveexec_b32 s0, vcc_lo
	s_cbranch_execz .LBB0_7
; %bb.6:
	v_fma_f32 v28, v18, 2.0, -v7
	v_fma_f32 v27, v3, 2.0, -v6
	;; [unrolled: 1-line block ×4, first 2 shown]
	v_add_lshl_u32 v1, v24, v23, 3
	v_fma_f32 v9, v8, 2.0, -v13
	v_fma_f32 v8, v0, 2.0, -v12
	ds_store_b128 v1, v[25:28]
	ds_store_b128 v1, v[8:11] offset:16
	ds_store_b128 v1, v[4:7] offset:32
	;; [unrolled: 1-line block ×3, first 2 shown]
.LBB0_7:
	s_wait_alu 0xfffe
	s_or_b32 exec_lo, exec_lo, s0
	v_lshlrev_b32_e32 v0, 4, v22
	s_load_b128 s[0:3], s[2:3], 0x0
	global_wb scope:SCOPE_SE
	s_wait_dscnt 0x0
	s_wait_kmcnt 0x0
	s_barrier_signal -1
	s_barrier_wait -1
	global_inv scope:SCOPE_SE
	global_load_b128 v[0:3], v0, s[4:5]
	v_lshlrev_b32_e32 v25, 3, v16
	v_lshl_add_u32 v26, v22, 3, v17
	ds_load_2addr_b64 v[27:30], v25 offset1:8
	ds_load_b64 v[8:9], v25 offset:128
	s_wait_loadcnt_dscnt 0x1
	v_mul_f32_e32 v16, v30, v1
	v_mul_f32_e32 v19, v29, v1
	s_wait_dscnt 0x0
	v_mul_f32_e32 v18, v9, v3
	s_delay_alu instid0(VALU_DEP_3) | instskip(NEXT) | instid1(VALU_DEP_3)
	v_fma_f32 v16, v29, v0, -v16
	v_fmac_f32_e32 v19, v30, v0
	s_delay_alu instid0(VALU_DEP_2) | instskip(SKIP_2) | instid1(VALU_DEP_2)
	v_add_f32_e32 v17, v27, v16
	v_mul_f32_e32 v31, v8, v3
	v_fma_f32 v8, v8, v2, -v18
	v_dual_add_f32 v32, v28, v19 :: v_dual_fmac_f32 v31, v9, v2
	s_delay_alu instid0(VALU_DEP_1) | instskip(NEXT) | instid1(VALU_DEP_1)
	v_dual_add_f32 v9, v16, v8 :: v_dual_sub_f32 v30, v19, v31
	v_fma_f32 v18, -0.5, v9, v27
	v_add_f32_e32 v29, v19, v31
	v_sub_f32_e32 v27, v16, v8
	s_delay_alu instid0(VALU_DEP_3) | instskip(SKIP_1) | instid1(VALU_DEP_4)
	v_dual_add_f32 v9, v32, v31 :: v_dual_fmamk_f32 v16, v30, 0x3f5db3d7, v18
	v_fmac_f32_e32 v18, 0xbf5db3d7, v30
	v_fma_f32 v19, -0.5, v29, v28
	s_delay_alu instid0(VALU_DEP_1)
	v_dual_add_f32 v8, v17, v8 :: v_dual_fmamk_f32 v17, v27, 0xbf5db3d7, v19
	v_fmac_f32_e32 v19, 0x3f5db3d7, v27
	ds_store_b64 v25, v[8:9]
	ds_store_2addr_b64 v26, v[16:17], v[18:19] offset0:8 offset1:16
	global_wb scope:SCOPE_SE
	s_wait_dscnt 0x0
	s_barrier_signal -1
	s_barrier_wait -1
	global_inv scope:SCOPE_SE
	s_and_saveexec_b32 s4, vcc_lo
	s_cbranch_execz .LBB0_9
; %bb.8:
	global_load_b64 v[27:28], v23, s[12:13] offset:192
	s_add_nc_u64 s[6:7], s[12:13], 0xc0
	s_clause 0x6
	global_load_b64 v[39:40], v23, s[6:7] offset:24
	global_load_b64 v[41:42], v23, s[6:7] offset:48
	;; [unrolled: 1-line block ×7, first 2 shown]
	ds_load_b64 v[29:30], v25
	s_wait_loadcnt_dscnt 0x700
	v_mul_f32_e32 v31, v30, v28
	v_mul_f32_e32 v32, v29, v28
	s_delay_alu instid0(VALU_DEP_2) | instskip(NEXT) | instid1(VALU_DEP_2)
	v_fma_f32 v31, v29, v27, -v31
	v_fmac_f32_e32 v32, v30, v27
	ds_store_b64 v25, v[31:32]
	ds_load_2addr_b64 v[27:30], v26 offset0:3 offset1:6
	ds_load_2addr_b64 v[31:34], v26 offset0:9 offset1:12
	;; [unrolled: 1-line block ×3, first 2 shown]
	ds_load_b64 v[53:54], v26 offset:168
	s_wait_loadcnt_dscnt 0x603
	v_mul_f32_e32 v55, v28, v40
	s_wait_loadcnt_dscnt 0x302
	v_dual_mul_f32 v56, v27, v40 :: v_dual_mul_f32 v59, v34, v46
	v_mul_f32_e32 v57, v30, v42
	v_mul_f32_e32 v40, v29, v42
	s_wait_loadcnt_dscnt 0x101
	v_dual_mul_f32 v58, v32, v44 :: v_dual_mul_f32 v61, v38, v50
	v_mul_f32_e32 v42, v31, v44
	v_mul_f32_e32 v44, v33, v46
	;; [unrolled: 1-line block ×5, first 2 shown]
	s_wait_loadcnt_dscnt 0x0
	v_mul_f32_e32 v62, v54, v52
	v_mul_f32_e32 v50, v53, v52
	v_fma_f32 v55, v27, v39, -v55
	v_fmac_f32_e32 v56, v28, v39
	v_fma_f32 v39, v29, v41, -v57
	v_fmac_f32_e32 v40, v30, v41
	;; [unrolled: 2-line block ×7, first 2 shown]
	ds_store_2addr_b64 v26, v[55:56], v[39:40] offset0:3 offset1:6
	ds_store_2addr_b64 v26, v[41:42], v[43:44] offset0:9 offset1:12
	;; [unrolled: 1-line block ×3, first 2 shown]
	ds_store_b64 v26, v[49:50] offset:168
.LBB0_9:
	s_wait_alu 0xfffe
	s_or_b32 exec_lo, exec_lo, s4
	global_wb scope:SCOPE_SE
	s_wait_dscnt 0x0
	s_barrier_signal -1
	s_barrier_wait -1
	global_inv scope:SCOPE_SE
	s_and_saveexec_b32 s4, vcc_lo
	s_cbranch_execz .LBB0_11
; %bb.10:
	ds_load_2addr_b64 v[10:13], v26 offset0:9 offset1:12
	ds_load_2addr_b64 v[27:30], v26 offset0:15 offset1:18
	;; [unrolled: 1-line block ×3, first 2 shown]
	ds_load_b64 v[8:9], v25
	ds_load_b64 v[14:15], v26 offset:168
	s_wait_dscnt 0x4
	v_dual_mov_b32 v5, v13 :: v_dual_mov_b32 v4, v12
	s_wait_dscnt 0x3
	v_dual_mov_b32 v7, v28 :: v_dual_mov_b32 v6, v27
	v_dual_mov_b32 v13, v30 :: v_dual_mov_b32 v12, v29
.LBB0_11:
	s_wait_alu 0xfffe
	s_or_b32 exec_lo, exec_lo, s4
	global_wb scope:SCOPE_SE
	s_wait_dscnt 0x0
	s_barrier_signal -1
	s_barrier_wait -1
	global_inv scope:SCOPE_SE
	s_and_saveexec_b32 s4, vcc_lo
	s_cbranch_execz .LBB0_13
; %bb.12:
	v_sub_f32_e32 v5, v9, v5
	v_dual_sub_f32 v27, v18, v12 :: v_dual_sub_f32 v28, v17, v7
	v_sub_f32_e32 v12, v10, v14
	v_dual_sub_f32 v14, v11, v15 :: v_dual_sub_f32 v15, v16, v6
	v_dual_sub_f32 v13, v19, v13 :: v_dual_sub_f32 v4, v8, v4
	s_delay_alu instid0(VALU_DEP_3) | instskip(NEXT) | instid1(VALU_DEP_3)
	v_dual_sub_f32 v29, v5, v27 :: v_dual_sub_f32 v30, v28, v12
	v_add_f32_e32 v31, v14, v15
	v_fma_f32 v9, v9, 2.0, -v5
	s_delay_alu instid0(VALU_DEP_4) | instskip(SKIP_4) | instid1(VALU_DEP_4)
	v_add_f32_e32 v32, v13, v4
	v_fma_f32 v19, v19, 2.0, -v13
	v_fmamk_f32 v7, v30, 0x3f3504f3, v29
	v_fma_f32 v33, v16, 2.0, -v15
	v_fma_f32 v10, v10, 2.0, -v12
	v_dual_fmamk_f32 v6, v31, 0x3f3504f3, v32 :: v_dual_sub_f32 v19, v9, v19
	s_delay_alu instid0(VALU_DEP_4) | instskip(SKIP_1) | instid1(VALU_DEP_4)
	v_fmac_f32_e32 v7, 0xbf3504f3, v31
	v_fma_f32 v8, v8, 2.0, -v4
	v_sub_f32_e32 v10, v33, v10
	s_delay_alu instid0(VALU_DEP_4)
	v_fmac_f32_e32 v6, 0x3f3504f3, v30
	v_fma_f32 v16, v18, 2.0, -v27
	v_fma_f32 v18, v17, 2.0, -v28
	;; [unrolled: 1-line block ×7, first 2 shown]
	v_dual_sub_f32 v5, v19, v10 :: v_dual_sub_f32 v4, v18, v11
	v_sub_f32_e32 v31, v8, v16
	v_fma_f32 v9, v9, 2.0, -v19
	s_delay_alu instid0(VALU_DEP_4)
	v_fmamk_f32 v16, v15, 0xbf3504f3, v28
	v_fma_f32 v10, v33, 2.0, -v10
	v_fma_f32 v18, v18, 2.0, -v4
	v_fma_f32 v8, v8, 2.0, -v31
	v_fmamk_f32 v17, v14, 0xbf3504f3, v27
	v_fmac_f32_e32 v16, 0x3f3504f3, v14
	v_add_f32_e32 v4, v4, v31
	v_fma_f32 v13, v29, 2.0, -v7
	s_delay_alu instid0(VALU_DEP_4)
	v_dual_sub_f32 v14, v8, v10 :: v_dual_fmac_f32 v17, 0xbf3504f3, v15
	v_sub_f32_e32 v15, v9, v18
	v_fma_f32 v29, v28, 2.0, -v16
	v_fma_f32 v12, v32, 2.0, -v6
	;; [unrolled: 1-line block ×6, first 2 shown]
	v_add_lshl_u32 v8, v24, v23, 3
	v_fma_f32 v10, v31, 2.0, -v4
	ds_store_b128 v8, v[27:30]
	ds_store_b128 v8, v[10:13] offset:16
	ds_store_b128 v8, v[14:17] offset:32
	;; [unrolled: 1-line block ×3, first 2 shown]
.LBB0_13:
	s_wait_alu 0xfffe
	s_or_b32 exec_lo, exec_lo, s4
	global_wb scope:SCOPE_SE
	s_wait_dscnt 0x0
	s_barrier_signal -1
	s_barrier_wait -1
	global_inv scope:SCOPE_SE
	ds_load_2addr_b64 v[4:7], v25 offset1:8
	ds_load_b64 v[8:9], v25 offset:128
	s_wait_dscnt 0x0
	v_dual_mul_f32 v10, v1, v7 :: v_dual_mul_f32 v11, v3, v9
	s_delay_alu instid0(VALU_DEP_1) | instskip(NEXT) | instid1(VALU_DEP_2)
	v_dual_mul_f32 v3, v3, v8 :: v_dual_fmac_f32 v10, v0, v6
	v_fmac_f32_e32 v11, v2, v8
	s_delay_alu instid0(VALU_DEP_2) | instskip(SKIP_1) | instid1(VALU_DEP_4)
	v_fma_f32 v3, v2, v9, -v3
	v_mul_f32_e32 v1, v1, v6
	v_add_f32_e32 v2, v4, v10
	s_delay_alu instid0(VALU_DEP_2) | instskip(NEXT) | instid1(VALU_DEP_1)
	v_fma_f32 v0, v0, v7, -v1
	v_dual_add_f32 v1, v10, v11 :: v_dual_add_f32 v8, v5, v0
	v_add_f32_e32 v6, v0, v3
	v_sub_f32_e32 v7, v0, v3
	s_delay_alu instid0(VALU_DEP_3) | instskip(SKIP_3) | instid1(VALU_DEP_4)
	v_fma_f32 v0, -0.5, v1, v4
	v_sub_f32_e32 v9, v10, v11
	v_add_f32_e32 v3, v8, v3
	v_fma_f32 v1, -0.5, v6, v5
	v_fmamk_f32 v4, v7, 0xbf5db3d7, v0
	v_add_f32_e32 v2, v2, v11
	s_delay_alu instid0(VALU_DEP_3)
	v_dual_fmac_f32 v0, 0x3f5db3d7, v7 :: v_dual_fmamk_f32 v5, v9, 0x3f5db3d7, v1
	v_fmac_f32_e32 v1, 0xbf5db3d7, v9
	ds_store_b64 v25, v[2:3]
	ds_store_2addr_b64 v26, v[4:5], v[0:1] offset0:8 offset1:16
	global_wb scope:SCOPE_SE
	s_wait_dscnt 0x0
	s_barrier_signal -1
	s_barrier_wait -1
	global_inv scope:SCOPE_SE
	s_and_b32 exec_lo, exec_lo, vcc_lo
	s_cbranch_execz .LBB0_15
; %bb.14:
	s_clause 0x7
	global_load_b64 v[12:13], v23, s[12:13]
	global_load_b64 v[14:15], v23, s[12:13] offset:24
	global_load_b64 v[16:17], v23, s[12:13] offset:48
	;; [unrolled: 1-line block ×7, first 2 shown]
	ds_load_b64 v[33:34], v25
	ds_load_2addr_b64 v[0:3], v26 offset0:3 offset1:6
	ds_load_2addr_b64 v[4:7], v26 offset0:9 offset1:12
	;; [unrolled: 1-line block ×3, first 2 shown]
	ds_load_b64 v[25:26], v26 offset:168
	v_mad_co_u64_u32 v[35:36], null, s2, v20, 0
	v_mad_co_u64_u32 v[37:38], null, s0, v22, 0
	s_wait_loadcnt_dscnt 0x603
	v_dual_mul_f32 v39, v34, v13 :: v_dual_mul_f32 v40, v1, v15
	v_mul_f32_e32 v13, v33, v13
	v_mul_f32_e32 v15, v0, v15
	s_wait_loadcnt_dscnt 0x402
	v_dual_mul_f32 v41, v3, v17 :: v_dual_mul_f32 v42, v5, v19
	v_mul_f32_e32 v17, v2, v17
	v_mul_f32_e32 v19, v4, v19
	s_wait_loadcnt 0x3
	v_dual_mul_f32 v43, v7, v28 :: v_dual_fmac_f32 v40, v0, v14
	s_wait_loadcnt_dscnt 0x201
	v_mul_f32_e32 v44, v9, v30
	v_fmac_f32_e32 v39, v33, v12
	v_mul_f32_e32 v28, v6, v28
	v_mul_f32_e32 v30, v8, v30
	v_fma_f32 v12, v12, v34, -v13
	s_wait_loadcnt 0x1
	v_dual_fmac_f32 v44, v8, v29 :: v_dual_mul_f32 v45, v11, v32
	v_fmac_f32_e32 v42, v4, v18
	v_mul_f32_e32 v32, v10, v32
	v_fma_f32 v13, v14, v1, -v15
	s_wait_loadcnt_dscnt 0x0
	v_mul_f32_e32 v46, v26, v24
	v_dual_mul_f32 v24, v25, v24 :: v_dual_fmac_f32 v43, v6, v27
	v_fmac_f32_e32 v41, v2, v16
	v_fma_f32 v14, v16, v3, -v17
	s_delay_alu instid0(VALU_DEP_4)
	v_fmac_f32_e32 v46, v25, v23
	v_fma_f32 v15, v18, v5, -v19
	v_cvt_f64_f32_e32 v[0:1], v39
	v_cvt_f64_f32_e32 v[4:5], v40
	v_mad_co_u64_u32 v[39:40], null, s3, v20, v[36:37]
	v_fma_f32 v18, v27, v7, -v28
	v_fma_f32 v27, v29, v9, -v30
	v_cvt_f64_f32_e32 v[2:3], v12
	v_fmac_f32_e32 v45, v10, v31
	v_fma_f32 v29, v31, v11, -v32
	v_cvt_f64_f32_e32 v[6:7], v13
	v_mov_b32_e32 v36, v39
	v_fma_f32 v33, v23, v26, -v24
	v_cvt_f64_f32_e32 v[8:9], v41
	v_cvt_f64_f32_e32 v[10:11], v14
	;; [unrolled: 1-line block ×12, first 2 shown]
	v_mad_co_u64_u32 v[40:41], null, s1, v22, v[38:39]
	s_mov_b32 s2, 0x55555555
	s_mov_b32 s3, 0x3fa55555
	v_lshlrev_b64_e32 v[35:36], 3, v[35:36]
	v_mad_co_u64_u32 v[42:43], null, s0, v21, 0
	s_delay_alu instid0(VALU_DEP_3) | instskip(NEXT) | instid1(VALU_DEP_3)
	v_mov_b32_e32 v38, v40
	v_add_co_u32 v20, vcc_lo, s8, v35
	s_delay_alu instid0(VALU_DEP_4)
	v_add_co_ci_u32_e32 v46, vcc_lo, s9, v36, vcc_lo
	s_wait_alu 0xfffe
	v_mul_f64_e32 v[0:1], s[2:3], v[0:1]
	v_mul_f64_e32 v[4:5], s[2:3], v[4:5]
	v_lshlrev_b64_e32 v[37:38], 3, v[37:38]
	v_mul_f64_e32 v[2:3], s[2:3], v[2:3]
	v_mul_f64_e32 v[6:7], s[2:3], v[6:7]
	;; [unrolled: 1-line block ×14, first 2 shown]
	v_add_co_u32 v34, vcc_lo, v20, v37
	s_wait_alu 0xfffd
	v_add_co_ci_u32_e32 v35, vcc_lo, v46, v38, vcc_lo
	s_mul_u64 s[2:3], s[0:1], 24
	s_wait_alu 0xfffe
	v_add_co_u32 v36, vcc_lo, v34, s2
	s_wait_alu 0xfffd
	v_add_co_ci_u32_e32 v37, vcc_lo, s3, v35, vcc_lo
	s_delay_alu instid0(VALU_DEP_2) | instskip(SKIP_1) | instid1(VALU_DEP_2)
	v_add_co_u32 v38, vcc_lo, v36, s2
	s_wait_alu 0xfffd
	v_add_co_ci_u32_e32 v39, vcc_lo, s3, v37, vcc_lo
	v_cvt_f32_f64_e32 v0, v[0:1]
	s_delay_alu instid0(VALU_DEP_3) | instskip(SKIP_1) | instid1(VALU_DEP_3)
	v_add_co_u32 v40, vcc_lo, v38, s2
	s_wait_alu 0xfffd
	v_add_co_ci_u32_e32 v41, vcc_lo, s3, v39, vcc_lo
	v_cvt_f32_f64_e32 v1, v[2:3]
	v_cvt_f32_f64_e32 v2, v[4:5]
	s_delay_alu instid0(VALU_DEP_3)
	v_mad_co_u64_u32 v[44:45], null, s0, 48, v[40:41]
	v_cvt_f32_f64_e32 v3, v[6:7]
	v_cvt_f32_f64_e32 v4, v[8:9]
	;; [unrolled: 1-line block ×11, first 2 shown]
	v_dual_mov_b32 v16, v43 :: v_dual_mov_b32 v17, v45
	v_cvt_f32_f64_e32 v14, v[30:31]
	v_cvt_f32_f64_e32 v15, v[32:33]
	s_delay_alu instid0(VALU_DEP_3) | instskip(NEXT) | instid1(VALU_DEP_1)
	v_mad_co_u64_u32 v[18:19], null, s1, v21, v[16:17]
	v_mov_b32_e32 v43, v18
	v_mad_co_u64_u32 v[16:17], null, s1, 48, v[17:18]
	v_add_co_u32 v18, vcc_lo, v44, s2
	s_delay_alu instid0(VALU_DEP_2) | instskip(NEXT) | instid1(VALU_DEP_4)
	v_mov_b32_e32 v45, v16
	v_lshlrev_b64_e32 v[16:17], 3, v[42:43]
	s_wait_alu 0xfffd
	s_delay_alu instid0(VALU_DEP_2) | instskip(NEXT) | instid1(VALU_DEP_2)
	v_add_co_ci_u32_e32 v19, vcc_lo, s3, v45, vcc_lo
	v_add_co_u32 v16, vcc_lo, v20, v16
	s_wait_alu 0xfffd
	s_delay_alu instid0(VALU_DEP_3)
	v_add_co_ci_u32_e32 v17, vcc_lo, v46, v17, vcc_lo
	v_add_co_u32 v20, vcc_lo, v18, s2
	s_wait_alu 0xfffd
	v_add_co_ci_u32_e32 v21, vcc_lo, s3, v19, vcc_lo
	s_clause 0x5
	global_store_b64 v[34:35], v[0:1], off
	global_store_b64 v[36:37], v[2:3], off
	;; [unrolled: 1-line block ×8, first 2 shown]
.LBB0_15:
	s_nop 0
	s_sendmsg sendmsg(MSG_DEALLOC_VGPRS)
	s_endpgm
	.section	.rodata,"a",@progbits
	.p2align	6, 0x0
	.amdhsa_kernel bluestein_single_back_len24_dim1_sp_op_CI_CI
		.amdhsa_group_segment_fixed_size 6144
		.amdhsa_private_segment_fixed_size 0
		.amdhsa_kernarg_size 104
		.amdhsa_user_sgpr_count 2
		.amdhsa_user_sgpr_dispatch_ptr 0
		.amdhsa_user_sgpr_queue_ptr 0
		.amdhsa_user_sgpr_kernarg_segment_ptr 1
		.amdhsa_user_sgpr_dispatch_id 0
		.amdhsa_user_sgpr_private_segment_size 0
		.amdhsa_wavefront_size32 1
		.amdhsa_uses_dynamic_stack 0
		.amdhsa_enable_private_segment 0
		.amdhsa_system_sgpr_workgroup_id_x 1
		.amdhsa_system_sgpr_workgroup_id_y 0
		.amdhsa_system_sgpr_workgroup_id_z 0
		.amdhsa_system_sgpr_workgroup_info 0
		.amdhsa_system_vgpr_workitem_id 0
		.amdhsa_next_free_vgpr 63
		.amdhsa_next_free_sgpr 14
		.amdhsa_reserve_vcc 1
		.amdhsa_float_round_mode_32 0
		.amdhsa_float_round_mode_16_64 0
		.amdhsa_float_denorm_mode_32 3
		.amdhsa_float_denorm_mode_16_64 3
		.amdhsa_fp16_overflow 0
		.amdhsa_workgroup_processor_mode 1
		.amdhsa_memory_ordered 1
		.amdhsa_forward_progress 0
		.amdhsa_round_robin_scheduling 0
		.amdhsa_exception_fp_ieee_invalid_op 0
		.amdhsa_exception_fp_denorm_src 0
		.amdhsa_exception_fp_ieee_div_zero 0
		.amdhsa_exception_fp_ieee_overflow 0
		.amdhsa_exception_fp_ieee_underflow 0
		.amdhsa_exception_fp_ieee_inexact 0
		.amdhsa_exception_int_div_zero 0
	.end_amdhsa_kernel
	.text
.Lfunc_end0:
	.size	bluestein_single_back_len24_dim1_sp_op_CI_CI, .Lfunc_end0-bluestein_single_back_len24_dim1_sp_op_CI_CI
                                        ; -- End function
	.section	.AMDGPU.csdata,"",@progbits
; Kernel info:
; codeLenInByte = 3904
; NumSgprs: 16
; NumVgprs: 63
; ScratchSize: 0
; MemoryBound: 0
; FloatMode: 240
; IeeeMode: 1
; LDSByteSize: 6144 bytes/workgroup (compile time only)
; SGPRBlocks: 1
; VGPRBlocks: 7
; NumSGPRsForWavesPerEU: 16
; NumVGPRsForWavesPerEU: 63
; Occupancy: 16
; WaveLimiterHint : 1
; COMPUTE_PGM_RSRC2:SCRATCH_EN: 0
; COMPUTE_PGM_RSRC2:USER_SGPR: 2
; COMPUTE_PGM_RSRC2:TRAP_HANDLER: 0
; COMPUTE_PGM_RSRC2:TGID_X_EN: 1
; COMPUTE_PGM_RSRC2:TGID_Y_EN: 0
; COMPUTE_PGM_RSRC2:TGID_Z_EN: 0
; COMPUTE_PGM_RSRC2:TIDIG_COMP_CNT: 0
	.text
	.p2alignl 7, 3214868480
	.fill 96, 4, 3214868480
	.type	__hip_cuid_982b047a3e79f15,@object ; @__hip_cuid_982b047a3e79f15
	.section	.bss,"aw",@nobits
	.globl	__hip_cuid_982b047a3e79f15
__hip_cuid_982b047a3e79f15:
	.byte	0                               ; 0x0
	.size	__hip_cuid_982b047a3e79f15, 1

	.ident	"AMD clang version 19.0.0git (https://github.com/RadeonOpenCompute/llvm-project roc-6.4.0 25133 c7fe45cf4b819c5991fe208aaa96edf142730f1d)"
	.section	".note.GNU-stack","",@progbits
	.addrsig
	.addrsig_sym __hip_cuid_982b047a3e79f15
	.amdgpu_metadata
---
amdhsa.kernels:
  - .args:
      - .actual_access:  read_only
        .address_space:  global
        .offset:         0
        .size:           8
        .value_kind:     global_buffer
      - .actual_access:  read_only
        .address_space:  global
        .offset:         8
        .size:           8
        .value_kind:     global_buffer
      - .actual_access:  read_only
        .address_space:  global
        .offset:         16
        .size:           8
        .value_kind:     global_buffer
      - .actual_access:  read_only
        .address_space:  global
        .offset:         24
        .size:           8
        .value_kind:     global_buffer
      - .actual_access:  read_only
        .address_space:  global
        .offset:         32
        .size:           8
        .value_kind:     global_buffer
      - .offset:         40
        .size:           8
        .value_kind:     by_value
      - .address_space:  global
        .offset:         48
        .size:           8
        .value_kind:     global_buffer
      - .address_space:  global
        .offset:         56
        .size:           8
        .value_kind:     global_buffer
      - .address_space:  global
        .offset:         64
        .size:           8
        .value_kind:     global_buffer
      - .address_space:  global
        .offset:         72
        .size:           8
        .value_kind:     global_buffer
      - .offset:         80
        .size:           4
        .value_kind:     by_value
      - .address_space:  global
        .offset:         88
        .size:           8
        .value_kind:     global_buffer
      - .address_space:  global
        .offset:         96
        .size:           8
        .value_kind:     global_buffer
    .group_segment_fixed_size: 6144
    .kernarg_segment_align: 8
    .kernarg_segment_size: 104
    .language:       OpenCL C
    .language_version:
      - 2
      - 0
    .max_flat_workgroup_size: 256
    .name:           bluestein_single_back_len24_dim1_sp_op_CI_CI
    .private_segment_fixed_size: 0
    .sgpr_count:     16
    .sgpr_spill_count: 0
    .symbol:         bluestein_single_back_len24_dim1_sp_op_CI_CI.kd
    .uniform_work_group_size: 1
    .uses_dynamic_stack: false
    .vgpr_count:     63
    .vgpr_spill_count: 0
    .wavefront_size: 32
    .workgroup_processor_mode: 1
amdhsa.target:   amdgcn-amd-amdhsa--gfx1201
amdhsa.version:
  - 1
  - 2
...

	.end_amdgpu_metadata
